;; amdgpu-corpus repo=zjin-lcf/HeCBench kind=compiled arch=gfx906 opt=O3
	.amdgcn_target "amdgcn-amd-amdhsa--gfx906"
	.amdhsa_code_object_version 6
	.text
	.protected	_Z28Pathcalc_Portfolio_KernelGPUPfS_PKfPKiS1_fiii ; -- Begin function _Z28Pathcalc_Portfolio_KernelGPUPfS_PKfPKiS1_fiii
	.globl	_Z28Pathcalc_Portfolio_KernelGPUPfS_PKfPKiS1_fiii
	.p2align	8
	.type	_Z28Pathcalc_Portfolio_KernelGPUPfS_PKfPKiS1_fiii,@function
_Z28Pathcalc_Portfolio_KernelGPUPfS_PKfPKiS1_fiii: ; @_Z28Pathcalc_Portfolio_KernelGPUPfS_PKfPKiS1_fiii
; %bb.0:
	s_add_u32 s0, s0, s7
	s_load_dword s7, s[4:5], 0x44
	s_addc_u32 s1, s1, 0
	s_add_u32 s8, s4, 56
	s_addc_u32 s9, s5, 0
	s_waitcnt lgkmcnt(0)
	s_and_b32 s7, s7, 0xffff
	s_mul_i32 s6, s6, s7
	v_add_u32_e32 v0, s6, v0
	s_mov_b32 s6, 0x17700
	v_cmp_gt_i32_e32 vcc, s6, v0
	s_and_saveexec_b64 s[10:11], vcc
	s_cbranch_execz .LBB0_41
; %bb.1:
	s_load_dword s33, s[8:9], 0x0
	s_load_dwordx4 s[20:23], s[4:5], 0x28
	s_load_dwordx2 s[10:11], s[4:5], 0x20
	s_load_dwordx8 s[12:19], s[4:5], 0x0
	v_mov_b32_e32 v1, 0xf800000
	v_mov_b32_e32 v2, 0x4f800000
	s_waitcnt lgkmcnt(0)
	v_mul_f32_e32 v2, s20, v2
	v_mov_b32_e32 v3, s20
	v_cmp_lt_f32_e32 vcc, s20, v1
	v_cndmask_b32_e32 v1, v3, v2, vcc
	v_sqrt_f32_e32 v2, v1
	s_cmp_gt_i32 s22, 0
	s_mul_i32 s33, s33, s7
	s_cselect_b64 s[6:7], -1, 0
	v_add_u32_e32 v3, -1, v2
	v_fma_f32 v4, -v3, v2, v1
	s_cmp_gt_i32 s21, 0
	v_cmp_ge_f32_e64 s[4:5], 0, v4
	v_add_u32_e32 v4, 1, v2
	s_cselect_b64 s[8:9], -1, 0
	v_cndmask_b32_e64 v3, v2, v3, s[4:5]
	v_fma_f32 v2, -v4, v2, v1
	s_sub_i32 s38, s22, s21
	v_cmp_lt_f32_e64 s[4:5], 0, v2
	s_cmp_gt_i32 s38, 0
	v_cndmask_b32_e64 v2, v3, v4, s[4:5]
	s_cselect_b64 s[30:31], -1, 0
	s_lshl_b32 s4, s21, 2
	s_add_i32 s39, s4, 0x290
	v_mul_f32_e32 v3, 0x37800000, v2
	s_cmp_gt_i32 s23, 0
	v_cndmask_b32_e32 v2, v2, v3, vcc
	v_mov_b32_e32 v3, 0x260
	s_cselect_b64 s[24:25], -1, 0
	s_cmp_gt_i32 s22, s21
	v_cmp_class_f32_e32 vcc, v1, v3
	s_cselect_b64 s[26:27], -1, 0
	s_sub_i32 s45, 0x150, s4
	s_sub_i32 s46, 0x1f0, s4
	;; [unrolled: 1-line block ×3, first 2 shown]
	s_add_i32 s4, s4, 4
	v_cndmask_b32_e32 v3, v2, v1, vcc
	s_lshl_b32 s5, s22, 2
	s_mul_i32 s28, s22, s21
	s_mul_i32 s4, s22, s4
	v_cndmask_b32_e64 v1, 0, 1, s[6:7]
	s_add_i32 s40, s5, 4
	s_add_i32 s44, s5, -8
	s_lshl_b32 s28, s28, 2
	s_sub_i32 s51, 0, s5
	s_add_i32 s52, s4, 0x3d0
	s_add_i32 s53, s5, 0x290
	v_cmp_ne_u32_e64 s[4:5], 1, v1
	v_cndmask_b32_e64 v1, 0, 1, s[8:9]
	s_add_i32 s43, s22, -1
	s_add_i32 s50, s28, 0x3d0
	v_cmp_ne_u32_e64 s[6:7], 1, v1
	v_cndmask_b32_e64 v1, 0, 1, s[30:31]
	s_add_i32 s41, s40, 0x3d0
	s_or_b32 s42, 0x290, 4
	s_add_i32 s47, s38, 1
	s_sub_i32 s49, s43, s21
	s_add_i32 s50, s50, -4
	s_add_i32 s52, s52, -4
	;; [unrolled: 1-line block ×3, first 2 shown]
	s_mov_b64 s[28:29], 0
	v_mov_b32_e32 v4, 0x3e99999a
	v_mov_b32_e32 v5, 0x3d4ccccd
	;; [unrolled: 1-line block ×3, first 2 shown]
	s_mov_b32 s54, 0x176ff
	v_cmp_ne_u32_e64 s[8:9], 1, v1
	v_mov_b32_e32 v7, 0xc2c80000
	s_branch .LBB0_3
.LBB0_2:                                ;   in Loop: Header=BB0_3 Depth=1
	buffer_load_dword v8, off, s[0:3], 0 offset:972
	v_mov_b32_e32 v9, s15
	v_add_co_u32_e32 v1, vcc, s14, v1
	v_addc_co_u32_e32 v2, vcc, v9, v2, vcc
	v_add_u32_e32 v0, s33, v0
	v_cmp_lt_i32_e32 vcc, s54, v0
	s_or_b64 s[28:29], vcc, s[28:29]
	s_waitcnt vmcnt(0)
	global_store_dword v[1:2], v8, off
	s_andn2_b64 exec, exec, s[28:29]
	s_cbranch_execz .LBB0_41
.LBB0_3:                                ; =>This Loop Header: Depth=1
                                        ;     Child Loop BB0_5 Depth 2
                                        ;     Child Loop BB0_7 Depth 2
	;; [unrolled: 1-line block ×3, first 2 shown]
                                        ;       Child Loop BB0_13 Depth 3
                                        ;     Child Loop BB0_16 Depth 2
                                        ;     Child Loop BB0_20 Depth 2
	;; [unrolled: 1-line block ×7, first 2 shown]
                                        ;       Child Loop BB0_40 Depth 3
	s_and_b64 vcc, exec, s[4:5]
	s_cbranch_vccnz .LBB0_8
; %bb.4:                                ;   in Loop: Header=BB0_3 Depth=1
	s_movk_i32 s30, 0x3710
	s_movk_i32 s31, 0x290
	s_mov_b32 s34, s22
.LBB0_5:                                ;   Parent Loop BB0_3 Depth=1
                                        ; =>  This Inner Loop Header: Depth=2
	v_mov_b32_e32 v1, s30
	v_mov_b32_e32 v2, s31
	s_add_i32 s34, s34, -1
	s_add_i32 s30, s30, 4
	s_add_i32 s31, s31, 4
	s_cmp_lg_u32 s34, 0
	buffer_store_dword v4, v1, s[0:3], 0 offen
	buffer_store_dword v5, v2, s[0:3], 0 offen
	s_cbranch_scc1 .LBB0_5
; %bb.6:                                ;   in Loop: Header=BB0_3 Depth=1
	s_movk_i32 s30, 0x3d0
	s_movk_i32 s31, 0x290
	s_mov_b32 s34, s22
.LBB0_7:                                ;   Parent Loop BB0_3 Depth=1
                                        ; =>  This Inner Loop Header: Depth=2
	v_mov_b32_e32 v1, s31
	buffer_load_dword v1, v1, s[0:3], 0 offen
	v_mov_b32_e32 v2, s30
	s_add_i32 s30, s30, 4
	s_add_i32 s31, s31, 4
	s_add_i32 s34, s34, -1
	s_cmp_eq_u32 s34, 0
	s_waitcnt vmcnt(0)
	buffer_store_dword v1, v2, s[0:3], 0 offen
	s_cbranch_scc0 .LBB0_7
.LBB0_8:                                ;   in Loop: Header=BB0_3 Depth=1
	s_and_b64 vcc, exec, s[6:7]
	s_cbranch_vccnz .LBB0_14
; %bb.9:                                ;   in Loop: Header=BB0_3 Depth=1
	s_mov_b32 s35, 0
	s_mov_b32 s34, s43
	;; [unrolled: 1-line block ×4, first 2 shown]
	s_branch .LBB0_11
.LBB0_10:                               ;   in Loop: Header=BB0_11 Depth=2
	s_add_i32 s37, s37, s40
	s_add_i32 s36, s36, 4
	s_add_i32 s34, s34, -1
	s_cmp_eq_u32 s35, s21
	s_cbranch_scc1 .LBB0_14
.LBB0_11:                               ;   Parent Loop BB0_3 Depth=1
                                        ; =>  This Loop Header: Depth=2
                                        ;       Child Loop BB0_13 Depth 3
	s_mov_b32 s30, s35
	s_add_i32 s35, s35, 1
	s_cmp_ge_i32 s35, s22
	s_cbranch_scc1 .LBB0_10
; %bb.12:                               ;   in Loop: Header=BB0_11 Depth=2
	s_lshl_b32 s30, s30, 2
	v_mov_b32_e32 v2, 0x3710
	v_add_u32_e32 v1, s30, v2
	buffer_load_dword v2, v1, s[0:3], 0 offen
	v_mov_b32_e32 v1, 0
	s_mov_b64 s[30:31], s[16:17]
	s_mov_b32 s55, s34
	s_mov_b32 s56, s36
	;; [unrolled: 1-line block ×3, first 2 shown]
	s_waitcnt vmcnt(0)
	v_mul_f32_e32 v2, v3, v2
.LBB0_13:                               ;   Parent Loop BB0_3 Depth=1
                                        ;     Parent Loop BB0_11 Depth=2
                                        ; =>    This Inner Loop Header: Depth=3
	v_mov_b32_e32 v8, s56
	buffer_load_dword v9, v8, s[0:3], 0 offen
	s_load_dword s60, s[30:31], 0x0
	s_add_i32 s56, s56, 4
	s_add_i32 s55, s55, -1
	s_waitcnt lgkmcnt(0)
	v_mov_b32_e32 v10, s60
	v_mul_f32_e32 v10, s20, v10
	s_waitcnt vmcnt(0)
	v_mul_f32_e32 v11, v10, v9
	v_fma_f32 v12, s20, v9, 1.0
	v_div_scale_f32 v13, s[58:59], v12, v12, v11
	v_div_scale_f32 v14, vcc, v11, v12, v11
	v_rcp_f32_e32 v15, v13
	v_fma_f32 v16, -v13, v15, 1.0
	v_fmac_f32_e32 v15, v16, v15
	v_mul_f32_e32 v16, v14, v15
	v_fma_f32 v17, -v13, v16, v14
	v_fmac_f32_e32 v16, v17, v15
	v_fma_f32 v13, -v13, v16, v14
	v_div_fmas_f32 v13, v13, v15, v16
	v_fma_f32 v15, -0.5, v10, v2
	v_mov_b32_e32 v14, s57
	s_add_i32 s57, s57, 4
	s_add_u32 s30, s30, 4
	s_addc_u32 s31, s31, 0
	s_cmp_eq_u32 s55, 0
	v_div_fixup_f32 v11, v13, v12, v11
	v_add_f32_e32 v1, v1, v11
	v_mul_f32_e32 v10, v10, v1
	v_fmac_f32_e32 v10, s60, v15
	v_mul_f32_e32 v10, 0x3fb8aa3b, v10
	v_exp_f32_e32 v10, v10
	v_mul_f32_e32 v9, v9, v10
	buffer_store_dword v9, v8, s[0:3], 0 offen
	buffer_store_dword v9, v14, s[0:3], 0 offen
	s_cbranch_scc0 .LBB0_13
	s_branch .LBB0_10
.LBB0_14:                               ;   in Loop: Header=BB0_3 Depth=1
	s_and_b64 vcc, exec, s[8:9]
	s_cbranch_vccnz .LBB0_17
; %bb.15:                               ;   in Loop: Header=BB0_3 Depth=1
	s_movk_i32 s30, 0xb0
	s_mov_b32 s31, 16
	v_mov_b32_e32 v1, 1.0
	v_mov_b32_e32 v2, 0
	s_mov_b32 s34, 0
	s_mov_b32 s35, s39
.LBB0_16:                               ;   Parent Loop BB0_3 Depth=1
                                        ; =>  This Inner Loop Header: Depth=2
	v_mov_b32_e32 v8, s35
	buffer_load_dword v8, v8, s[0:3], 0 offen
	s_add_i32 s34, s34, 1
	s_add_i32 s35, s35, 4
	s_waitcnt vmcnt(0)
	v_fma_f32 v8, s20, v8, 1.0
	v_div_scale_f32 v9, s[36:37], v8, v8, v1
	v_div_scale_f32 v10, vcc, v1, v8, v1
	v_rcp_f32_e32 v11, v9
	v_fma_f32 v12, -v9, v11, 1.0
	v_fmac_f32_e32 v11, v12, v11
	v_mul_f32_e32 v12, v10, v11
	v_fma_f32 v13, -v9, v12, v10
	v_fmac_f32_e32 v12, v13, v11
	v_fma_f32 v9, -v9, v12, v10
	v_div_fmas_f32 v9, v9, v11, v12
	v_mov_b32_e32 v10, s31
	v_mov_b32_e32 v11, s30
	s_add_i32 s30, s30, 4
	s_add_i32 s31, s31, 4
	s_cmp_ge_i32 s34, s38
	v_div_fixup_f32 v1, v9, v8, v1
	v_fmac_f32_e32 v2, s20, v1
	buffer_store_dword v1, v10, s[0:3], 0 offen
	buffer_store_dword v2, v11, s[0:3], 0 offen
	s_cbranch_scc0 .LBB0_16
.LBB0_17:                               ;   in Loop: Header=BB0_3 Depth=1
	s_andn2_b64 vcc, exec, s[24:25]
	v_mov_b32_e32 v1, 0
	buffer_store_dword v6, off, s[0:3], 0 offset:336
	buffer_store_dword v6, off, s[0:3], 0 offset:496
	;; [unrolled: 1-line block ×80, first 2 shown]
	s_cbranch_vccnz .LBB0_22
; %bb.18:                               ;   in Loop: Header=BB0_3 Depth=1
	s_mov_b64 s[30:31], s[10:11]
	s_mov_b64 s[34:35], s[18:19]
	s_mov_b32 s55, s23
	s_branch .LBB0_20
.LBB0_19:                               ;   in Loop: Header=BB0_20 Depth=2
	s_or_b64 exec, exec, s[36:37]
	s_add_i32 s55, s55, -1
	s_add_u32 s34, s34, 4
	s_addc_u32 s35, s35, 0
	s_add_u32 s30, s30, 4
	s_addc_u32 s31, s31, 0
	s_cmp_eq_u32 s55, 0
	s_cbranch_scc1 .LBB0_22
.LBB0_20:                               ;   Parent Loop BB0_3 Depth=1
                                        ; =>  This Inner Loop Header: Depth=2
	s_load_dword s36, s[34:35], 0x0
	v_mov_b32_e32 v9, 0xb0
	s_waitcnt lgkmcnt(0)
	s_add_i32 s36, s36, -1
	s_lshl_b32 s56, s36, 2
	v_add_u32_e64 v2, s56, 16
	v_add_u32_e32 v8, s56, v9
	buffer_load_dword v2, v2, s[0:3], 0 offen
	s_nop 0
	buffer_load_dword v8, v8, s[0:3], 0 offen
	s_load_dword s57, s[30:31], 0x0
	s_waitcnt vmcnt(0) lgkmcnt(0)
	v_fmac_f32_e32 v2, s57, v8
	v_add_f32_e32 v2, -1.0, v2
	v_cmp_gt_f32_e32 vcc, 0, v2
	s_and_saveexec_b64 s[36:37], vcc
	s_cbranch_execz .LBB0_19
; %bb.21:                               ;   in Loop: Header=BB0_20 Depth=2
	v_mov_b32_e32 v9, 0x1f0
	v_add_u32_e32 v8, s56, v9
	v_mov_b32_e32 v10, 0x150
	v_add_u32_e32 v9, s56, v10
	buffer_load_dword v10, v8, s[0:3], 0 offen
	buffer_load_dword v11, v9, s[0:3], 0 offen
	v_fmac_f32_e32 v1, 0xc2c80000, v2
	s_waitcnt vmcnt(1)
	v_fmac_f32_e32 v10, s57, v7
	s_waitcnt vmcnt(0)
	v_add_f32_e32 v2, 0xc2c80000, v11
	buffer_store_dword v10, v8, s[0:3], 0 offen
	buffer_store_dword v2, v9, s[0:3], 0 offen
	s_branch .LBB0_19
.LBB0_22:                               ;   in Loop: Header=BB0_3 Depth=1
	s_and_b64 vcc, exec, s[8:9]
	s_cbranch_vccnz .LBB0_27
; %bb.23:                               ;   in Loop: Header=BB0_3 Depth=1
	s_movk_i32 s30, 0x290
	s_mov_b32 s31, s48
	s_mov_b32 s34, s47
	;; [unrolled: 1-line block ×4, first 2 shown]
	s_branch .LBB0_25
.LBB0_24:                               ;   in Loop: Header=BB0_25 Depth=2
	s_add_i32 s36, s36, -4
	s_add_i32 s35, s35, -4
	;; [unrolled: 1-line block ×5, first 2 shown]
	s_cmp_lt_u32 s34, 2
	s_cbranch_scc1 .LBB0_27
.LBB0_25:                               ;   Parent Loop BB0_3 Depth=1
                                        ; =>  This Inner Loop Header: Depth=2
	s_add_i32 s37, s30, s44
	v_mov_b32_e32 v10, s37
	buffer_load_dword v9, v10, s[0:3], 0 offen offset:4
	s_add_i32 s55, s35, s44
	s_add_i32 s37, s36, s44
	;; [unrolled: 1-line block ×3, first 2 shown]
	v_mov_b32_e32 v2, s55
	v_mov_b32_e32 v11, s37
	buffer_load_dword v2, v2, s[0:3], 0 offen offset:4
	s_nop 0
	buffer_load_dword v8, v11, s[0:3], 0 offen offset:4
	v_mov_b32_e32 v12, s56
	buffer_load_dword v12, v12, s[0:3], 0 offen offset:4
	s_cmp_eq_u32 s34, 2
	s_waitcnt vmcnt(3)
	v_fma_f32 v9, s20, v9, 1.0
	v_div_scale_f32 v13, s[56:57], v9, v9, s20
	v_div_scale_f32 v14, vcc, s20, v9, s20
	s_waitcnt vmcnt(1)
	v_fmac_f32_e32 v8, s20, v2
	buffer_store_dword v8, v11, s[0:3], 0 offen offset:4
	s_waitcnt vmcnt(1)
	v_mul_f32_e64 v11, v12, -v8
	v_rcp_f32_e32 v15, v13
	v_fma_f32 v16, -v13, v15, 1.0
	v_fmac_f32_e32 v15, v16, v15
	v_mul_f32_e32 v16, v14, v15
	v_fma_f32 v17, -v13, v16, v14
	v_fmac_f32_e32 v16, v17, v15
	v_fma_f32 v13, -v13, v16, v14
	v_div_fmas_f32 v13, v13, v15, v16
	v_div_fixup_f32 v9, v13, v9, s20
	v_mul_f32_e32 v9, v11, v9
	buffer_store_dword v9, v10, s[0:3], 0 offen offset:4
	s_cbranch_scc1 .LBB0_24
; %bb.26:                               ;   in Loop: Header=BB0_25 Depth=2
	v_mov_b32_e32 v10, s55
	v_mov_b32_e32 v11, s37
	buffer_load_dword v12, v10, s[0:3], 0 offen
	buffer_load_dword v13, v11, s[0:3], 0 offen
	v_fma_f32 v9, s20, v9, 1.0
	v_div_scale_f32 v14, s[56:57], v9, v9, v8
	v_div_scale_f32 v15, vcc, v8, v9, v8
	v_rcp_f32_e32 v16, v14
	v_fma_f32 v17, -v14, v16, 1.0
	v_fmac_f32_e32 v16, v17, v16
	v_mul_f32_e32 v17, v15, v16
	v_fma_f32 v18, -v14, v17, v15
	v_fmac_f32_e32 v17, v18, v16
	v_fma_f32 v14, -v14, v17, v15
	v_div_fmas_f32 v14, v14, v16, v17
	v_div_fixup_f32 v8, v14, v9, v8
	s_waitcnt vmcnt(1)
	v_add_f32_e32 v2, v2, v12
	s_waitcnt vmcnt(0)
	v_add_f32_e32 v8, v8, v13
	buffer_store_dword v2, v10, s[0:3], 0 offen
	buffer_store_dword v8, v11, s[0:3], 0 offen
	s_branch .LBB0_24
.LBB0_27:                               ;   in Loop: Header=BB0_3 Depth=1
	s_and_b64 vcc, exec, s[6:7]
	s_cbranch_vccnz .LBB0_31
; %bb.28:                               ;   in Loop: Header=BB0_3 Depth=1
	s_movk_i32 s30, 0x290
	v_mov_b32_e32 v2, 1.0
	s_mov_b32 s31, s21
.LBB0_29:                               ;   Parent Loop BB0_3 Depth=1
                                        ; =>  This Inner Loop Header: Depth=2
	v_mov_b32_e32 v8, s30
	buffer_load_dword v8, v8, s[0:3], 0 offen
	s_add_i32 s30, s30, 4
	s_add_i32 s31, s31, -1
	s_cmp_lg_u32 s31, 0
	s_waitcnt vmcnt(0)
	v_fma_f32 v8, s20, v8, 1.0
	v_div_scale_f32 v9, s[34:35], v8, v8, v2
	v_div_scale_f32 v10, vcc, v2, v8, v2
	v_rcp_f32_e32 v11, v9
	v_fma_f32 v12, -v9, v11, 1.0
	v_fmac_f32_e32 v11, v12, v11
	v_mul_f32_e32 v12, v10, v11
	v_fma_f32 v13, -v9, v12, v10
	v_fmac_f32_e32 v12, v13, v11
	v_fma_f32 v9, -v9, v12, v10
	v_div_fmas_f32 v9, v9, v11, v12
	v_div_fixup_f32 v2, v9, v8, v2
	s_cbranch_scc1 .LBB0_29
; %bb.30:                               ;   in Loop: Header=BB0_3 Depth=1
	s_and_b64 vcc, exec, s[6:7]
	v_mul_f32_e32 v8, v1, v2
	s_cbranch_vccz .LBB0_32
	s_branch .LBB0_34
.LBB0_31:                               ;   in Loop: Header=BB0_3 Depth=1
	v_mov_b32_e32 v2, 1.0
	s_and_b64 vcc, exec, s[6:7]
	v_mul_f32_e32 v8, v1, v2
	s_cbranch_vccnz .LBB0_34
.LBB0_32:                               ;   in Loop: Header=BB0_3 Depth=1
	v_mul_f32_e64 v1, s20, -v8
	s_movk_i32 s30, 0x290
	s_mov_b32 s31, s21
.LBB0_33:                               ;   Parent Loop BB0_3 Depth=1
                                        ; =>  This Inner Loop Header: Depth=2
	v_mov_b32_e32 v9, s30
	buffer_load_dword v10, v9, s[0:3], 0 offen
	s_add_i32 s30, s30, 4
	s_add_i32 s31, s31, -1
	s_cmp_eq_u32 s31, 0
	s_waitcnt vmcnt(0)
	v_fma_f32 v10, s20, v10, 1.0
	v_div_scale_f32 v11, s[34:35], v10, v10, v1
	v_div_scale_f32 v12, vcc, v1, v10, v1
	v_rcp_f32_e32 v13, v11
	v_fma_f32 v14, -v11, v13, 1.0
	v_fmac_f32_e32 v13, v14, v13
	v_mul_f32_e32 v14, v12, v13
	v_fma_f32 v15, -v11, v14, v12
	v_fmac_f32_e32 v14, v15, v13
	v_fma_f32 v11, -v11, v14, v12
	v_div_fmas_f32 v11, v11, v13, v14
	v_div_fixup_f32 v10, v11, v10, v1
	buffer_store_dword v10, v9, s[0:3], 0 offen
	s_cbranch_scc0 .LBB0_33
.LBB0_34:                               ;   in Loop: Header=BB0_3 Depth=1
	s_andn2_b64 vcc, exec, s[26:27]
	s_mov_b32 s30, s39
	s_mov_b32 s31, s21
	s_cbranch_vccnz .LBB0_36
.LBB0_35:                               ;   Parent Loop BB0_3 Depth=1
                                        ; =>  This Inner Loop Header: Depth=2
	v_mov_b32_e32 v1, s30
	buffer_load_dword v9, v1, s[0:3], 0 offen
	s_add_i32 s31, s31, 1
	s_add_i32 s30, s30, 4
	s_cmp_lt_i32 s31, s22
	s_waitcnt vmcnt(0)
	v_mul_f32_e32 v9, v2, v9
	buffer_store_dword v9, v1, s[0:3], 0 offen
	s_cbranch_scc1 .LBB0_35
.LBB0_36:                               ;   in Loop: Header=BB0_3 Depth=1
	v_ashrrev_i32_e32 v1, 31, v0
	v_lshlrev_b64 v[1:2], 2, v[0:1]
	v_mov_b32_e32 v10, s13
	v_add_co_u32_e32 v9, vcc, s12, v1
	v_addc_co_u32_e32 v10, vcc, v10, v2, vcc
	s_and_b64 vcc, exec, s[6:7]
	s_mov_b32 s36, s52
	s_mov_b32 s37, s50
	;; [unrolled: 1-line block ×4, first 2 shown]
	global_store_dword v[9:10], v8, off
	s_cbranch_vccz .LBB0_38
	s_branch .LBB0_2
.LBB0_37:                               ;   in Loop: Header=BB0_38 Depth=2
	s_add_i32 s31, s55, -1
	s_add_i32 s30, s30, 1
	s_add_i32 s37, s37, s51
	;; [unrolled: 1-line block ×3, first 2 shown]
	s_cmp_lt_u32 s55, 2
	s_mov_b32 s55, s31
	s_cbranch_scc1 .LBB0_2
.LBB0_38:                               ;   Parent Loop BB0_3 Depth=1
                                        ; =>  This Loop Header: Depth=2
                                        ;       Child Loop BB0_40 Depth 3
	s_cmp_le_i32 s22, s55
	s_cbranch_scc1 .LBB0_37
; %bb.39:                               ;   in Loop: Header=BB0_38 Depth=2
	s_ashr_i32 s31, s30, 31
	s_lshl_b64 s[34:35], s[30:31], 2
	s_add_u32 s34, s16, s34
	s_addc_u32 s35, s17, s35
	v_mov_b32_e32 v8, 0
	s_mov_b32 s31, s53
	s_mov_b32 s56, s36
	;; [unrolled: 1-line block ×4, first 2 shown]
.LBB0_40:                               ;   Parent Loop BB0_3 Depth=1
                                        ;     Parent Loop BB0_38 Depth=2
                                        ; =>    This Inner Loop Header: Depth=3
	v_mov_b32_e32 v9, s56
	buffer_load_dword v9, v9, s[0:3], 0 offen
	v_mov_b32_e32 v11, s31
	buffer_load_dword v12, v11, s[0:3], 0 offen
	s_load_dword s59, s[34:35], 0x0
	s_add_i32 s58, s58, -1
	s_add_u32 s34, s34, -4
	s_addc_u32 s35, s35, -1
	s_add_i32 s56, s56, -4
	s_add_i32 s31, s31, -4
	s_waitcnt vmcnt(1) lgkmcnt(0)
	v_mul_f32_e32 v10, s59, v9
	s_waitcnt vmcnt(0)
	v_fmac_f32_e32 v8, v10, v12
	v_mov_b32_e32 v10, s57
	buffer_load_dword v10, v10, s[0:3], 0 offen
	s_add_i32 s57, s57, -4
	s_cmp_le_u32 s58, s55
	s_waitcnt vmcnt(0)
	v_fma_f32 v13, s20, v10, 1.0
	v_div_scale_f32 v14, s[60:61], v13, v13, s20
	v_rcp_f32_e32 v15, v14
	v_fma_f32 v16, -v14, v15, 1.0
	v_fmac_f32_e32 v15, v16, v15
	v_div_scale_f32 v16, vcc, s20, v13, s20
	v_mul_f32_e32 v17, v16, v15
	v_fma_f32 v18, -v14, v17, v16
	v_fmac_f32_e32 v17, v18, v15
	v_fma_f32 v14, -v14, v17, v16
	v_div_fmas_f32 v14, v14, v15, v17
	v_div_fixup_f32 v13, v14, v13, s20
	v_div_scale_f32 v14, s[60:61], v10, v10, v9
	v_rcp_f32_e32 v15, v14
	v_fma_f32 v16, -v14, v15, 1.0
	v_fmac_f32_e32 v15, v16, v15
	v_div_scale_f32 v16, vcc, v9, v10, v9
	v_mul_f32_e32 v17, v16, v15
	v_fma_f32 v18, -v14, v17, v16
	v_fmac_f32_e32 v17, v18, v15
	v_fma_f32 v14, -v14, v17, v16
	v_div_fmas_f32 v14, v14, v15, v17
	v_div_fixup_f32 v9, v14, v10, v9
	v_mul_f32_e32 v10, s59, v8
	v_mul_f32_e32 v10, v10, v13
	v_mul_f32_e32 v10, v13, v10
	v_fmac_f32_e32 v10, v12, v9
	buffer_store_dword v10, v11, s[0:3], 0 offen
	s_cbranch_scc0 .LBB0_40
	s_branch .LBB0_37
.LBB0_41:
	s_endpgm
	.section	.rodata,"a",@progbits
	.p2align	6, 0x0
	.amdhsa_kernel _Z28Pathcalc_Portfolio_KernelGPUPfS_PKfPKiS1_fiii
		.amdhsa_group_segment_fixed_size 0
		.amdhsa_private_segment_fixed_size 14416
		.amdhsa_kernarg_size 312
		.amdhsa_user_sgpr_count 6
		.amdhsa_user_sgpr_private_segment_buffer 1
		.amdhsa_user_sgpr_dispatch_ptr 0
		.amdhsa_user_sgpr_queue_ptr 0
		.amdhsa_user_sgpr_kernarg_segment_ptr 1
		.amdhsa_user_sgpr_dispatch_id 0
		.amdhsa_user_sgpr_flat_scratch_init 0
		.amdhsa_user_sgpr_private_segment_size 0
		.amdhsa_uses_dynamic_stack 0
		.amdhsa_system_sgpr_private_segment_wavefront_offset 1
		.amdhsa_system_sgpr_workgroup_id_x 1
		.amdhsa_system_sgpr_workgroup_id_y 0
		.amdhsa_system_sgpr_workgroup_id_z 0
		.amdhsa_system_sgpr_workgroup_info 0
		.amdhsa_system_vgpr_workitem_id 0
		.amdhsa_next_free_vgpr 19
		.amdhsa_next_free_sgpr 62
		.amdhsa_reserve_vcc 1
		.amdhsa_reserve_flat_scratch 0
		.amdhsa_float_round_mode_32 0
		.amdhsa_float_round_mode_16_64 0
		.amdhsa_float_denorm_mode_32 3
		.amdhsa_float_denorm_mode_16_64 3
		.amdhsa_dx10_clamp 1
		.amdhsa_ieee_mode 1
		.amdhsa_fp16_overflow 0
		.amdhsa_exception_fp_ieee_invalid_op 0
		.amdhsa_exception_fp_denorm_src 0
		.amdhsa_exception_fp_ieee_div_zero 0
		.amdhsa_exception_fp_ieee_overflow 0
		.amdhsa_exception_fp_ieee_underflow 0
		.amdhsa_exception_fp_ieee_inexact 0
		.amdhsa_exception_int_div_zero 0
	.end_amdhsa_kernel
	.text
.Lfunc_end0:
	.size	_Z28Pathcalc_Portfolio_KernelGPUPfS_PKfPKiS1_fiii, .Lfunc_end0-_Z28Pathcalc_Portfolio_KernelGPUPfS_PKfPKiS1_fiii
                                        ; -- End function
	.set _Z28Pathcalc_Portfolio_KernelGPUPfS_PKfPKiS1_fiii.num_vgpr, 19
	.set _Z28Pathcalc_Portfolio_KernelGPUPfS_PKfPKiS1_fiii.num_agpr, 0
	.set _Z28Pathcalc_Portfolio_KernelGPUPfS_PKfPKiS1_fiii.numbered_sgpr, 62
	.set _Z28Pathcalc_Portfolio_KernelGPUPfS_PKfPKiS1_fiii.num_named_barrier, 0
	.set _Z28Pathcalc_Portfolio_KernelGPUPfS_PKfPKiS1_fiii.private_seg_size, 14416
	.set _Z28Pathcalc_Portfolio_KernelGPUPfS_PKfPKiS1_fiii.uses_vcc, 1
	.set _Z28Pathcalc_Portfolio_KernelGPUPfS_PKfPKiS1_fiii.uses_flat_scratch, 0
	.set _Z28Pathcalc_Portfolio_KernelGPUPfS_PKfPKiS1_fiii.has_dyn_sized_stack, 0
	.set _Z28Pathcalc_Portfolio_KernelGPUPfS_PKfPKiS1_fiii.has_recursion, 0
	.set _Z28Pathcalc_Portfolio_KernelGPUPfS_PKfPKiS1_fiii.has_indirect_call, 0
	.section	.AMDGPU.csdata,"",@progbits
; Kernel info:
; codeLenInByte = 3220
; TotalNumSgprs: 66
; NumVgprs: 19
; ScratchSize: 14416
; MemoryBound: 0
; FloatMode: 240
; IeeeMode: 1
; LDSByteSize: 0 bytes/workgroup (compile time only)
; SGPRBlocks: 8
; VGPRBlocks: 4
; NumSGPRsForWavesPerEU: 66
; NumVGPRsForWavesPerEU: 19
; Occupancy: 10
; WaveLimiterHint : 0
; COMPUTE_PGM_RSRC2:SCRATCH_EN: 1
; COMPUTE_PGM_RSRC2:USER_SGPR: 6
; COMPUTE_PGM_RSRC2:TRAP_HANDLER: 0
; COMPUTE_PGM_RSRC2:TGID_X_EN: 1
; COMPUTE_PGM_RSRC2:TGID_Y_EN: 0
; COMPUTE_PGM_RSRC2:TGID_Z_EN: 0
; COMPUTE_PGM_RSRC2:TIDIG_COMP_CNT: 0
	.text
	.protected	_Z29Pathcalc_Portfolio_KernelGPU2PfPKfPKiS1_fiii ; -- Begin function _Z29Pathcalc_Portfolio_KernelGPU2PfPKfPKiS1_fiii
	.globl	_Z29Pathcalc_Portfolio_KernelGPU2PfPKfPKiS1_fiii
	.p2align	8
	.type	_Z29Pathcalc_Portfolio_KernelGPU2PfPKfPKiS1_fiii,@function
_Z29Pathcalc_Portfolio_KernelGPU2PfPKfPKiS1_fiii: ; @_Z29Pathcalc_Portfolio_KernelGPU2PfPKfPKiS1_fiii
; %bb.0:
	s_add_u32 s0, s0, s7
	s_load_dword s7, s[4:5], 0x3c
	s_addc_u32 s1, s1, 0
	s_add_u32 s8, s4, 48
	s_addc_u32 s9, s5, 0
	s_waitcnt lgkmcnt(0)
	s_and_b32 s7, s7, 0xffff
	s_mul_i32 s6, s6, s7
	v_add_u32_e32 v0, s6, v0
	s_mov_b32 s6, 0x17700
	v_cmp_gt_i32_e32 vcc, s6, v0
	s_and_saveexec_b64 s[10:11], vcc
	s_cbranch_execz .LBB1_22
; %bb.1:
	s_load_dword s30, s[8:9], 0x0
	s_load_dwordx8 s[12:19], s[4:5], 0x10
	s_load_dwordx4 s[20:23], s[4:5], 0x0
	v_mov_b32_e32 v1, 0xf800000
	v_mov_b32_e32 v2, 0x4f800000
	s_waitcnt lgkmcnt(0)
	s_mul_i32 s30, s30, s7
	v_mul_f32_e32 v2, s16, v2
	v_mov_b32_e32 v3, s16
	v_cmp_lt_f32_e32 vcc, s16, v1
	v_cndmask_b32_e32 v1, v3, v2, vcc
	v_sqrt_f32_e32 v2, v1
	s_cmp_gt_i32 s18, 0
	s_cselect_b64 s[6:7], -1, 0
	s_cmp_gt_i32 s17, 0
	v_add_u32_e32 v3, -1, v2
	v_fma_f32 v4, -v3, v2, v1
	v_cmp_ge_f32_e64 s[4:5], 0, v4
	v_add_u32_e32 v4, 1, v2
	v_cndmask_b32_e64 v3, v2, v3, s[4:5]
	v_fma_f32 v2, -v4, v2, v1
	v_cmp_lt_f32_e64 s[4:5], 0, v2
	v_cndmask_b32_e64 v2, v3, v4, s[4:5]
	v_mul_f32_e32 v3, 0x37800000, v2
	s_cselect_b64 s[8:9], -1, 0
	v_cndmask_b32_e32 v2, v2, v3, vcc
	v_mov_b32_e32 v3, 0x260
	s_cmp_lt_i32 s17, s18
	v_cmp_class_f32_e32 vcc, v1, v3
	s_cselect_b64 s[10:11], -1, 0
	s_cmp_gt_i32 s19, 0
	v_cndmask_b32_e32 v2, v2, v1, vcc
	s_cselect_b64 s[26:27], -1, 0
	s_lshl_b32 s4, s17, 2
	v_cndmask_b32_e64 v1, 0, 1, s[6:7]
	s_add_i32 s34, s4, 0x140
	v_cmp_ne_u32_e64 s[4:5], 1, v1
	v_cndmask_b32_e64 v1, 0, 1, s[8:9]
	v_cmp_ne_u32_e64 s[6:7], 1, v1
	v_cndmask_b32_e64 v1, 0, 1, s[10:11]
	;; [unrolled: 2-line block ×3, first 2 shown]
	s_or_b32 s31, 0x140, 4
	s_add_i32 s33, s18, -1
	s_mov_b64 s[24:25], 0
	v_mov_b32_e32 v3, 0x3e99999a
	v_mov_b32_e32 v4, 0x3d4ccccd
	v_cmp_ne_u32_e64 s[10:11], 1, v1
	s_mov_b32 s35, 0x176ff
	s_branch .LBB1_4
.LBB1_2:                                ;   in Loop: Header=BB1_4 Depth=1
	v_mov_b32_e32 v5, 1.0
.LBB1_3:                                ;   in Loop: Header=BB1_4 Depth=1
	v_mul_f32_e32 v7, v1, v5
	v_ashrrev_i32_e32 v1, 31, v0
	v_lshlrev_b64 v[5:6], 2, v[0:1]
	v_mov_b32_e32 v1, s21
	v_add_co_u32_e32 v5, vcc, s20, v5
	v_addc_co_u32_e32 v6, vcc, v1, v6, vcc
	v_add_u32_e32 v0, s30, v0
	v_cmp_lt_i32_e32 vcc, s35, v0
	s_or_b64 s[24:25], vcc, s[24:25]
	global_store_dword v[5:6], v7, off
	s_andn2_b64 exec, exec, s[24:25]
	s_cbranch_execz .LBB1_22
.LBB1_4:                                ; =>This Loop Header: Depth=1
                                        ;     Child Loop BB1_6 Depth 2
                                        ;     Child Loop BB1_10 Depth 2
                                        ;       Child Loop BB1_12 Depth 3
                                        ;     Child Loop BB1_15 Depth 2
                                        ;     Child Loop BB1_18 Depth 2
	;; [unrolled: 1-line block ×3, first 2 shown]
	s_and_b64 vcc, exec, s[4:5]
	s_cbranch_vccnz .LBB1_7
; %bb.5:                                ;   in Loop: Header=BB1_4 Depth=1
	s_movk_i32 s26, 0x280
	s_movk_i32 s27, 0x140
	s_mov_b32 s28, s18
.LBB1_6:                                ;   Parent Loop BB1_4 Depth=1
                                        ; =>  This Inner Loop Header: Depth=2
	v_mov_b32_e32 v1, s26
	v_mov_b32_e32 v5, s27
	s_add_i32 s28, s28, -1
	s_add_i32 s26, s26, 4
	s_add_i32 s27, s27, 4
	s_cmp_lg_u32 s28, 0
	buffer_store_dword v3, v1, s[0:3], 0 offen
	buffer_store_dword v4, v5, s[0:3], 0 offen
	s_cbranch_scc1 .LBB1_6
.LBB1_7:                                ;   in Loop: Header=BB1_4 Depth=1
	s_and_b64 vcc, exec, s[6:7]
	s_cbranch_vccnz .LBB1_13
; %bb.8:                                ;   in Loop: Header=BB1_4 Depth=1
	s_mov_b32 s29, 0
	s_mov_b32 s28, s33
	;; [unrolled: 1-line block ×3, first 2 shown]
	s_branch .LBB1_10
.LBB1_9:                                ;   in Loop: Header=BB1_10 Depth=2
	s_add_i32 s36, s36, 4
	s_add_i32 s28, s28, -1
	s_cmp_eq_u32 s29, s17
	s_cbranch_scc1 .LBB1_13
.LBB1_10:                               ;   Parent Loop BB1_4 Depth=1
                                        ; =>  This Loop Header: Depth=2
                                        ;       Child Loop BB1_12 Depth 3
	s_mov_b32 s26, s29
	s_add_i32 s29, s29, 1
	s_cmp_ge_i32 s29, s18
	s_cbranch_scc1 .LBB1_9
; %bb.11:                               ;   in Loop: Header=BB1_10 Depth=2
	s_lshl_b32 s26, s26, 2
	v_mov_b32_e32 v5, 0x280
	v_add_u32_e32 v1, s26, v5
	buffer_load_dword v5, v1, s[0:3], 0 offen
	v_mov_b32_e32 v1, 0
	s_mov_b64 s[26:27], s[22:23]
	s_mov_b32 s37, s28
	s_mov_b32 s38, s36
	s_waitcnt vmcnt(0)
	v_mul_f32_e32 v5, v2, v5
.LBB1_12:                               ;   Parent Loop BB1_4 Depth=1
                                        ;     Parent Loop BB1_10 Depth=2
                                        ; =>    This Inner Loop Header: Depth=3
	v_mov_b32_e32 v6, s38
	buffer_load_dword v7, v6, s[0:3], 0 offen
	s_load_dword s39, s[26:27], 0x0
	s_add_i32 s38, s38, 4
	s_add_i32 s37, s37, -1
	s_add_u32 s26, s26, 4
	s_addc_u32 s27, s27, 0
	s_waitcnt lgkmcnt(0)
	v_mov_b32_e32 v8, s39
	v_mul_f32_e32 v8, s16, v8
	s_cmp_eq_u32 s37, 0
	s_waitcnt vmcnt(0)
	v_mul_f32_e32 v9, v8, v7
	v_fma_f32 v10, s16, v7, 1.0
	v_div_scale_f32 v11, s[40:41], v10, v10, v9
	v_div_scale_f32 v12, vcc, v9, v10, v9
	v_rcp_f32_e32 v13, v11
	v_fma_f32 v14, -v11, v13, 1.0
	v_fmac_f32_e32 v13, v14, v13
	v_mul_f32_e32 v14, v12, v13
	v_fma_f32 v15, -v11, v14, v12
	v_fmac_f32_e32 v14, v15, v13
	v_fma_f32 v11, -v11, v14, v12
	v_div_fmas_f32 v11, v11, v13, v14
	v_fma_f32 v12, -0.5, v8, v5
	v_div_fixup_f32 v9, v11, v10, v9
	v_add_f32_e32 v1, v1, v9
	v_mul_f32_e32 v8, v8, v1
	v_fmac_f32_e32 v8, s39, v12
	v_mul_f32_e32 v8, 0x3fb8aa3b, v8
	v_exp_f32_e32 v8, v8
	v_mul_f32_e32 v7, v7, v8
	buffer_store_dword v7, v6, s[0:3], 0 offen
	s_cbranch_scc0 .LBB1_12
	s_branch .LBB1_9
.LBB1_13:                               ;   in Loop: Header=BB1_4 Depth=1
	s_and_b64 vcc, exec, s[8:9]
	s_cbranch_vccnz .LBB1_16
; %bb.14:                               ;   in Loop: Header=BB1_4 Depth=1
	s_movk_i32 s26, 0xa0
	s_mov_b32 s27, 0
	v_mov_b32_e32 v1, 1.0
	v_mov_b32_e32 v5, 0
	s_mov_b32 s28, s34
	s_mov_b32 s29, s17
.LBB1_15:                               ;   Parent Loop BB1_4 Depth=1
                                        ; =>  This Inner Loop Header: Depth=2
	v_mov_b32_e32 v6, s28
	buffer_load_dword v6, v6, s[0:3], 0 offen
	s_add_i32 s29, s29, 1
	s_add_i32 s28, s28, 4
	s_waitcnt vmcnt(0)
	v_fma_f32 v6, s16, v6, 1.0
	v_div_scale_f32 v7, s[36:37], v6, v6, v1
	v_div_scale_f32 v8, vcc, v1, v6, v1
	v_rcp_f32_e32 v9, v7
	v_fma_f32 v10, -v7, v9, 1.0
	v_fmac_f32_e32 v9, v10, v9
	v_mul_f32_e32 v10, v8, v9
	v_fma_f32 v11, -v7, v10, v8
	v_fmac_f32_e32 v10, v11, v9
	v_fma_f32 v7, -v7, v10, v8
	v_div_fmas_f32 v7, v7, v9, v10
	v_mov_b32_e32 v8, s27
	v_mov_b32_e32 v9, s26
	s_add_i32 s26, s26, 4
	s_add_i32 s27, s27, 4
	s_cmp_ge_i32 s29, s18
	v_div_fixup_f32 v1, v7, v6, v1
	v_fmac_f32_e32 v5, s16, v1
	buffer_store_dword v1, v8, s[0:3], 0 offen
	buffer_store_dword v5, v9, s[0:3], 0 offen
	s_cbranch_scc0 .LBB1_15
.LBB1_16:                               ;   in Loop: Header=BB1_4 Depth=1
	v_mov_b32_e32 v1, 0
	s_and_b64 vcc, exec, s[10:11]
	s_cbranch_vccnz .LBB1_19
; %bb.17:                               ;   in Loop: Header=BB1_4 Depth=1
	s_mov_b64 s[26:27], s[14:15]
	s_mov_b64 s[28:29], s[12:13]
	s_mov_b32 s36, s19
.LBB1_18:                               ;   Parent Loop BB1_4 Depth=1
                                        ; =>  This Inner Loop Header: Depth=2
	s_load_dword s37, s[28:29], 0x0
	v_mov_b32_e32 v7, 0xa0
	s_add_i32 s36, s36, -1
	s_waitcnt lgkmcnt(0)
	s_lshl_b32 s37, s37, 2
	s_add_i32 s37, s37, -4
	v_mov_b32_e32 v5, s37
	v_add_u32_e32 v6, s37, v7
	buffer_load_dword v7, v5, s[0:3], 0 offen
	buffer_load_dword v8, v6, s[0:3], 0 offen
	s_load_dword s37, s[26:27], 0x0
	s_add_u32 s28, s28, 4
	s_addc_u32 s29, s29, 0
	v_mov_b32_e32 v5, v1
	s_add_u32 s26, s26, 4
	s_addc_u32 s27, s27, 0
	s_cmp_eq_u32 s36, 0
	s_waitcnt vmcnt(0) lgkmcnt(0)
	v_fmac_f32_e32 v7, s37, v8
	v_add_f32_e32 v6, -1.0, v7
	v_fmac_f32_e32 v5, 0xc2c80000, v6
	v_cmp_gt_f32_e32 vcc, 0, v6
	v_cndmask_b32_e32 v1, v1, v5, vcc
	s_cbranch_scc0 .LBB1_18
.LBB1_19:                               ;   in Loop: Header=BB1_4 Depth=1
	s_and_b64 vcc, exec, s[6:7]
	s_cbranch_vccnz .LBB1_2
; %bb.20:                               ;   in Loop: Header=BB1_4 Depth=1
	s_movk_i32 s26, 0x140
	v_mov_b32_e32 v5, 1.0
	s_mov_b32 s27, s17
.LBB1_21:                               ;   Parent Loop BB1_4 Depth=1
                                        ; =>  This Inner Loop Header: Depth=2
	v_mov_b32_e32 v6, s26
	buffer_load_dword v6, v6, s[0:3], 0 offen
	s_add_i32 s26, s26, 4
	s_add_i32 s27, s27, -1
	s_cmp_lg_u32 s27, 0
	s_waitcnt vmcnt(0)
	v_fma_f32 v6, s16, v6, 1.0
	v_div_scale_f32 v7, s[28:29], v6, v6, v5
	v_div_scale_f32 v8, vcc, v5, v6, v5
	v_rcp_f32_e32 v9, v7
	v_fma_f32 v10, -v7, v9, 1.0
	v_fmac_f32_e32 v9, v10, v9
	v_mul_f32_e32 v10, v8, v9
	v_fma_f32 v11, -v7, v10, v8
	v_fmac_f32_e32 v10, v11, v9
	v_fma_f32 v7, -v7, v10, v8
	v_div_fmas_f32 v7, v7, v9, v10
	v_div_fixup_f32 v5, v7, v6, v5
	s_cbranch_scc1 .LBB1_21
	s_branch .LBB1_3
.LBB1_22:
	s_endpgm
	.section	.rodata,"a",@progbits
	.p2align	6, 0x0
	.amdhsa_kernel _Z29Pathcalc_Portfolio_KernelGPU2PfPKfPKiS1_fiii
		.amdhsa_group_segment_fixed_size 0
		.amdhsa_private_segment_fixed_size 976
		.amdhsa_kernarg_size 304
		.amdhsa_user_sgpr_count 6
		.amdhsa_user_sgpr_private_segment_buffer 1
		.amdhsa_user_sgpr_dispatch_ptr 0
		.amdhsa_user_sgpr_queue_ptr 0
		.amdhsa_user_sgpr_kernarg_segment_ptr 1
		.amdhsa_user_sgpr_dispatch_id 0
		.amdhsa_user_sgpr_flat_scratch_init 0
		.amdhsa_user_sgpr_private_segment_size 0
		.amdhsa_uses_dynamic_stack 0
		.amdhsa_system_sgpr_private_segment_wavefront_offset 1
		.amdhsa_system_sgpr_workgroup_id_x 1
		.amdhsa_system_sgpr_workgroup_id_y 0
		.amdhsa_system_sgpr_workgroup_id_z 0
		.amdhsa_system_sgpr_workgroup_info 0
		.amdhsa_system_vgpr_workitem_id 0
		.amdhsa_next_free_vgpr 16
		.amdhsa_next_free_sgpr 42
		.amdhsa_reserve_vcc 1
		.amdhsa_reserve_flat_scratch 0
		.amdhsa_float_round_mode_32 0
		.amdhsa_float_round_mode_16_64 0
		.amdhsa_float_denorm_mode_32 3
		.amdhsa_float_denorm_mode_16_64 3
		.amdhsa_dx10_clamp 1
		.amdhsa_ieee_mode 1
		.amdhsa_fp16_overflow 0
		.amdhsa_exception_fp_ieee_invalid_op 0
		.amdhsa_exception_fp_denorm_src 0
		.amdhsa_exception_fp_ieee_div_zero 0
		.amdhsa_exception_fp_ieee_overflow 0
		.amdhsa_exception_fp_ieee_underflow 0
		.amdhsa_exception_fp_ieee_inexact 0
		.amdhsa_exception_int_div_zero 0
	.end_amdhsa_kernel
	.text
.Lfunc_end1:
	.size	_Z29Pathcalc_Portfolio_KernelGPU2PfPKfPKiS1_fiii, .Lfunc_end1-_Z29Pathcalc_Portfolio_KernelGPU2PfPKfPKiS1_fiii
                                        ; -- End function
	.set _Z29Pathcalc_Portfolio_KernelGPU2PfPKfPKiS1_fiii.num_vgpr, 16
	.set _Z29Pathcalc_Portfolio_KernelGPU2PfPKfPKiS1_fiii.num_agpr, 0
	.set _Z29Pathcalc_Portfolio_KernelGPU2PfPKfPKiS1_fiii.numbered_sgpr, 42
	.set _Z29Pathcalc_Portfolio_KernelGPU2PfPKfPKiS1_fiii.num_named_barrier, 0
	.set _Z29Pathcalc_Portfolio_KernelGPU2PfPKfPKiS1_fiii.private_seg_size, 976
	.set _Z29Pathcalc_Portfolio_KernelGPU2PfPKfPKiS1_fiii.uses_vcc, 1
	.set _Z29Pathcalc_Portfolio_KernelGPU2PfPKfPKiS1_fiii.uses_flat_scratch, 0
	.set _Z29Pathcalc_Portfolio_KernelGPU2PfPKfPKiS1_fiii.has_dyn_sized_stack, 0
	.set _Z29Pathcalc_Portfolio_KernelGPU2PfPKfPKiS1_fiii.has_recursion, 0
	.set _Z29Pathcalc_Portfolio_KernelGPU2PfPKfPKiS1_fiii.has_indirect_call, 0
	.section	.AMDGPU.csdata,"",@progbits
; Kernel info:
; codeLenInByte = 1252
; TotalNumSgprs: 46
; NumVgprs: 16
; ScratchSize: 976
; MemoryBound: 0
; FloatMode: 240
; IeeeMode: 1
; LDSByteSize: 0 bytes/workgroup (compile time only)
; SGPRBlocks: 5
; VGPRBlocks: 3
; NumSGPRsForWavesPerEU: 46
; NumVGPRsForWavesPerEU: 16
; Occupancy: 10
; WaveLimiterHint : 0
; COMPUTE_PGM_RSRC2:SCRATCH_EN: 1
; COMPUTE_PGM_RSRC2:USER_SGPR: 6
; COMPUTE_PGM_RSRC2:TRAP_HANDLER: 0
; COMPUTE_PGM_RSRC2:TGID_X_EN: 1
; COMPUTE_PGM_RSRC2:TGID_Y_EN: 0
; COMPUTE_PGM_RSRC2:TGID_Z_EN: 0
; COMPUTE_PGM_RSRC2:TIDIG_COMP_CNT: 0
	.section	.AMDGPU.gpr_maximums,"",@progbits
	.set amdgpu.max_num_vgpr, 0
	.set amdgpu.max_num_agpr, 0
	.set amdgpu.max_num_sgpr, 0
	.section	.AMDGPU.csdata,"",@progbits
	.type	__hip_cuid_61018a8f0accc290,@object ; @__hip_cuid_61018a8f0accc290
	.section	.bss,"aw",@nobits
	.globl	__hip_cuid_61018a8f0accc290
__hip_cuid_61018a8f0accc290:
	.byte	0                               ; 0x0
	.size	__hip_cuid_61018a8f0accc290, 1

	.ident	"AMD clang version 22.0.0git (https://github.com/RadeonOpenCompute/llvm-project roc-7.2.4 26084 f58b06dce1f9c15707c5f808fd002e18c2accf7e)"
	.section	".note.GNU-stack","",@progbits
	.addrsig
	.addrsig_sym __hip_cuid_61018a8f0accc290
	.amdgpu_metadata
---
amdhsa.kernels:
  - .args:
      - .actual_access:  write_only
        .address_space:  global
        .offset:         0
        .size:           8
        .value_kind:     global_buffer
      - .actual_access:  write_only
        .address_space:  global
        .offset:         8
        .size:           8
        .value_kind:     global_buffer
      - .actual_access:  read_only
        .address_space:  global
        .offset:         16
        .size:           8
        .value_kind:     global_buffer
      - .actual_access:  read_only
        .address_space:  global
        .offset:         24
        .size:           8
        .value_kind:     global_buffer
      - .actual_access:  read_only
        .address_space:  global
        .offset:         32
        .size:           8
        .value_kind:     global_buffer
      - .offset:         40
        .size:           4
        .value_kind:     by_value
      - .offset:         44
        .size:           4
        .value_kind:     by_value
      - .offset:         48
        .size:           4
        .value_kind:     by_value
      - .offset:         52
        .size:           4
        .value_kind:     by_value
      - .offset:         56
        .size:           4
        .value_kind:     hidden_block_count_x
      - .offset:         60
        .size:           4
        .value_kind:     hidden_block_count_y
      - .offset:         64
        .size:           4
        .value_kind:     hidden_block_count_z
      - .offset:         68
        .size:           2
        .value_kind:     hidden_group_size_x
      - .offset:         70
        .size:           2
        .value_kind:     hidden_group_size_y
      - .offset:         72
        .size:           2
        .value_kind:     hidden_group_size_z
      - .offset:         74
        .size:           2
        .value_kind:     hidden_remainder_x
      - .offset:         76
        .size:           2
        .value_kind:     hidden_remainder_y
      - .offset:         78
        .size:           2
        .value_kind:     hidden_remainder_z
      - .offset:         96
        .size:           8
        .value_kind:     hidden_global_offset_x
      - .offset:         104
        .size:           8
        .value_kind:     hidden_global_offset_y
      - .offset:         112
        .size:           8
        .value_kind:     hidden_global_offset_z
      - .offset:         120
        .size:           2
        .value_kind:     hidden_grid_dims
    .group_segment_fixed_size: 0
    .kernarg_segment_align: 8
    .kernarg_segment_size: 312
    .language:       OpenCL C
    .language_version:
      - 2
      - 0
    .max_flat_workgroup_size: 1024
    .name:           _Z28Pathcalc_Portfolio_KernelGPUPfS_PKfPKiS1_fiii
    .private_segment_fixed_size: 14416
    .sgpr_count:     66
    .sgpr_spill_count: 0
    .symbol:         _Z28Pathcalc_Portfolio_KernelGPUPfS_PKfPKiS1_fiii.kd
    .uniform_work_group_size: 1
    .uses_dynamic_stack: false
    .vgpr_count:     19
    .vgpr_spill_count: 0
    .wavefront_size: 64
  - .args:
      - .actual_access:  write_only
        .address_space:  global
        .offset:         0
        .size:           8
        .value_kind:     global_buffer
      - .actual_access:  read_only
        .address_space:  global
        .offset:         8
        .size:           8
        .value_kind:     global_buffer
      - .actual_access:  read_only
        .address_space:  global
        .offset:         16
        .size:           8
        .value_kind:     global_buffer
      - .actual_access:  read_only
        .address_space:  global
        .offset:         24
        .size:           8
        .value_kind:     global_buffer
      - .offset:         32
        .size:           4
        .value_kind:     by_value
      - .offset:         36
        .size:           4
        .value_kind:     by_value
      - .offset:         40
        .size:           4
        .value_kind:     by_value
      - .offset:         44
        .size:           4
        .value_kind:     by_value
      - .offset:         48
        .size:           4
        .value_kind:     hidden_block_count_x
      - .offset:         52
        .size:           4
        .value_kind:     hidden_block_count_y
      - .offset:         56
        .size:           4
        .value_kind:     hidden_block_count_z
      - .offset:         60
        .size:           2
        .value_kind:     hidden_group_size_x
      - .offset:         62
        .size:           2
        .value_kind:     hidden_group_size_y
      - .offset:         64
        .size:           2
        .value_kind:     hidden_group_size_z
      - .offset:         66
        .size:           2
        .value_kind:     hidden_remainder_x
      - .offset:         68
        .size:           2
        .value_kind:     hidden_remainder_y
      - .offset:         70
        .size:           2
        .value_kind:     hidden_remainder_z
      - .offset:         88
        .size:           8
        .value_kind:     hidden_global_offset_x
      - .offset:         96
        .size:           8
        .value_kind:     hidden_global_offset_y
      - .offset:         104
        .size:           8
        .value_kind:     hidden_global_offset_z
      - .offset:         112
        .size:           2
        .value_kind:     hidden_grid_dims
    .group_segment_fixed_size: 0
    .kernarg_segment_align: 8
    .kernarg_segment_size: 304
    .language:       OpenCL C
    .language_version:
      - 2
      - 0
    .max_flat_workgroup_size: 1024
    .name:           _Z29Pathcalc_Portfolio_KernelGPU2PfPKfPKiS1_fiii
    .private_segment_fixed_size: 976
    .sgpr_count:     46
    .sgpr_spill_count: 0
    .symbol:         _Z29Pathcalc_Portfolio_KernelGPU2PfPKfPKiS1_fiii.kd
    .uniform_work_group_size: 1
    .uses_dynamic_stack: false
    .vgpr_count:     16
    .vgpr_spill_count: 0
    .wavefront_size: 64
amdhsa.target:   amdgcn-amd-amdhsa--gfx906
amdhsa.version:
  - 1
  - 2
...

	.end_amdgpu_metadata
